;; amdgpu-corpus repo=ROCm/rocFFT kind=compiled arch=gfx1030 opt=O3
	.text
	.amdgcn_target "amdgcn-amd-amdhsa--gfx1030"
	.amdhsa_code_object_version 6
	.protected	fft_rtc_fwd_len484_factors_4_11_11_wgs_44_tpt_44_sp_op_CI_CI_unitstride_sbrr_C2R_dirReg ; -- Begin function fft_rtc_fwd_len484_factors_4_11_11_wgs_44_tpt_44_sp_op_CI_CI_unitstride_sbrr_C2R_dirReg
	.globl	fft_rtc_fwd_len484_factors_4_11_11_wgs_44_tpt_44_sp_op_CI_CI_unitstride_sbrr_C2R_dirReg
	.p2align	8
	.type	fft_rtc_fwd_len484_factors_4_11_11_wgs_44_tpt_44_sp_op_CI_CI_unitstride_sbrr_C2R_dirReg,@function
fft_rtc_fwd_len484_factors_4_11_11_wgs_44_tpt_44_sp_op_CI_CI_unitstride_sbrr_C2R_dirReg: ; @fft_rtc_fwd_len484_factors_4_11_11_wgs_44_tpt_44_sp_op_CI_CI_unitstride_sbrr_C2R_dirReg
; %bb.0:
	s_clause 0x2
	s_load_dwordx4 s[12:15], s[4:5], 0x0
	s_load_dwordx4 s[8:11], s[4:5], 0x58
	;; [unrolled: 1-line block ×3, first 2 shown]
	v_mul_u32_u24_e32 v1, 0x5d2, v0
	v_mov_b32_e32 v3, 0
	v_add_nc_u32_sdwa v5, s6, v1 dst_sel:DWORD dst_unused:UNUSED_PAD src0_sel:DWORD src1_sel:WORD_1
	v_mov_b32_e32 v1, 0
	v_mov_b32_e32 v6, v3
	v_mov_b32_e32 v2, 0
	s_waitcnt lgkmcnt(0)
	v_cmp_lt_u64_e64 s0, s[14:15], 2
	s_and_b32 vcc_lo, exec_lo, s0
	s_cbranch_vccnz .LBB0_8
; %bb.1:
	s_load_dwordx2 s[0:1], s[4:5], 0x10
	v_mov_b32_e32 v1, 0
	v_mov_b32_e32 v2, 0
	s_add_u32 s2, s18, 8
	s_addc_u32 s3, s19, 0
	s_add_u32 s6, s16, 8
	s_addc_u32 s7, s17, 0
	v_mov_b32_e32 v17, v2
	v_mov_b32_e32 v16, v1
	s_mov_b64 s[22:23], 1
	s_waitcnt lgkmcnt(0)
	s_add_u32 s20, s0, 8
	s_addc_u32 s21, s1, 0
.LBB0_2:                                ; =>This Inner Loop Header: Depth=1
	s_load_dwordx2 s[24:25], s[20:21], 0x0
                                        ; implicit-def: $vgpr18_vgpr19
	s_mov_b32 s0, exec_lo
	s_waitcnt lgkmcnt(0)
	v_or_b32_e32 v4, s25, v6
	v_cmpx_ne_u64_e32 0, v[3:4]
	s_xor_b32 s1, exec_lo, s0
	s_cbranch_execz .LBB0_4
; %bb.3:                                ;   in Loop: Header=BB0_2 Depth=1
	v_cvt_f32_u32_e32 v4, s24
	v_cvt_f32_u32_e32 v7, s25
	s_sub_u32 s0, 0, s24
	s_subb_u32 s26, 0, s25
	v_fmac_f32_e32 v4, 0x4f800000, v7
	v_rcp_f32_e32 v4, v4
	v_mul_f32_e32 v4, 0x5f7ffffc, v4
	v_mul_f32_e32 v7, 0x2f800000, v4
	v_trunc_f32_e32 v7, v7
	v_fmac_f32_e32 v4, 0xcf800000, v7
	v_cvt_u32_f32_e32 v7, v7
	v_cvt_u32_f32_e32 v4, v4
	v_mul_lo_u32 v8, s0, v7
	v_mul_hi_u32 v9, s0, v4
	v_mul_lo_u32 v10, s26, v4
	v_add_nc_u32_e32 v8, v9, v8
	v_mul_lo_u32 v9, s0, v4
	v_add_nc_u32_e32 v8, v8, v10
	v_mul_hi_u32 v10, v4, v9
	v_mul_lo_u32 v11, v4, v8
	v_mul_hi_u32 v12, v4, v8
	v_mul_hi_u32 v13, v7, v9
	v_mul_lo_u32 v9, v7, v9
	v_mul_hi_u32 v14, v7, v8
	v_mul_lo_u32 v8, v7, v8
	v_add_co_u32 v10, vcc_lo, v10, v11
	v_add_co_ci_u32_e32 v11, vcc_lo, 0, v12, vcc_lo
	v_add_co_u32 v9, vcc_lo, v10, v9
	v_add_co_ci_u32_e32 v9, vcc_lo, v11, v13, vcc_lo
	v_add_co_ci_u32_e32 v10, vcc_lo, 0, v14, vcc_lo
	v_add_co_u32 v8, vcc_lo, v9, v8
	v_add_co_ci_u32_e32 v9, vcc_lo, 0, v10, vcc_lo
	v_add_co_u32 v4, vcc_lo, v4, v8
	v_add_co_ci_u32_e32 v7, vcc_lo, v7, v9, vcc_lo
	v_mul_hi_u32 v8, s0, v4
	v_mul_lo_u32 v10, s26, v4
	v_mul_lo_u32 v9, s0, v7
	v_add_nc_u32_e32 v8, v8, v9
	v_mul_lo_u32 v9, s0, v4
	v_add_nc_u32_e32 v8, v8, v10
	v_mul_hi_u32 v10, v4, v9
	v_mul_lo_u32 v11, v4, v8
	v_mul_hi_u32 v12, v4, v8
	v_mul_hi_u32 v13, v7, v9
	v_mul_lo_u32 v9, v7, v9
	v_mul_hi_u32 v14, v7, v8
	v_mul_lo_u32 v8, v7, v8
	v_add_co_u32 v10, vcc_lo, v10, v11
	v_add_co_ci_u32_e32 v11, vcc_lo, 0, v12, vcc_lo
	v_add_co_u32 v9, vcc_lo, v10, v9
	v_add_co_ci_u32_e32 v9, vcc_lo, v11, v13, vcc_lo
	v_add_co_ci_u32_e32 v10, vcc_lo, 0, v14, vcc_lo
	v_add_co_u32 v8, vcc_lo, v9, v8
	v_add_co_ci_u32_e32 v9, vcc_lo, 0, v10, vcc_lo
	v_add_co_u32 v4, vcc_lo, v4, v8
	v_add_co_ci_u32_e32 v11, vcc_lo, v7, v9, vcc_lo
	v_mul_hi_u32 v13, v5, v4
	v_mad_u64_u32 v[9:10], null, v6, v4, 0
	v_mad_u64_u32 v[7:8], null, v5, v11, 0
	;; [unrolled: 1-line block ×3, first 2 shown]
	v_add_co_u32 v4, vcc_lo, v13, v7
	v_add_co_ci_u32_e32 v7, vcc_lo, 0, v8, vcc_lo
	v_add_co_u32 v4, vcc_lo, v4, v9
	v_add_co_ci_u32_e32 v4, vcc_lo, v7, v10, vcc_lo
	v_add_co_ci_u32_e32 v7, vcc_lo, 0, v12, vcc_lo
	v_add_co_u32 v4, vcc_lo, v4, v11
	v_add_co_ci_u32_e32 v9, vcc_lo, 0, v7, vcc_lo
	v_mul_lo_u32 v10, s25, v4
	v_mad_u64_u32 v[7:8], null, s24, v4, 0
	v_mul_lo_u32 v11, s24, v9
	v_sub_co_u32 v7, vcc_lo, v5, v7
	v_add3_u32 v8, v8, v11, v10
	v_sub_nc_u32_e32 v10, v6, v8
	v_subrev_co_ci_u32_e64 v10, s0, s25, v10, vcc_lo
	v_add_co_u32 v11, s0, v4, 2
	v_add_co_ci_u32_e64 v12, s0, 0, v9, s0
	v_sub_co_u32 v13, s0, v7, s24
	v_sub_co_ci_u32_e32 v8, vcc_lo, v6, v8, vcc_lo
	v_subrev_co_ci_u32_e64 v10, s0, 0, v10, s0
	v_cmp_le_u32_e32 vcc_lo, s24, v13
	v_cmp_eq_u32_e64 s0, s25, v8
	v_cndmask_b32_e64 v13, 0, -1, vcc_lo
	v_cmp_le_u32_e32 vcc_lo, s25, v10
	v_cndmask_b32_e64 v14, 0, -1, vcc_lo
	v_cmp_le_u32_e32 vcc_lo, s24, v7
	;; [unrolled: 2-line block ×3, first 2 shown]
	v_cndmask_b32_e64 v15, 0, -1, vcc_lo
	v_cmp_eq_u32_e32 vcc_lo, s25, v10
	v_cndmask_b32_e64 v7, v15, v7, s0
	v_cndmask_b32_e32 v10, v14, v13, vcc_lo
	v_add_co_u32 v13, vcc_lo, v4, 1
	v_add_co_ci_u32_e32 v14, vcc_lo, 0, v9, vcc_lo
	v_cmp_ne_u32_e32 vcc_lo, 0, v10
	v_cndmask_b32_e32 v8, v14, v12, vcc_lo
	v_cndmask_b32_e32 v10, v13, v11, vcc_lo
	v_cmp_ne_u32_e32 vcc_lo, 0, v7
	v_cndmask_b32_e32 v19, v9, v8, vcc_lo
	v_cndmask_b32_e32 v18, v4, v10, vcc_lo
.LBB0_4:                                ;   in Loop: Header=BB0_2 Depth=1
	s_andn2_saveexec_b32 s0, s1
	s_cbranch_execz .LBB0_6
; %bb.5:                                ;   in Loop: Header=BB0_2 Depth=1
	v_cvt_f32_u32_e32 v4, s24
	s_sub_i32 s1, 0, s24
	v_mov_b32_e32 v19, v3
	v_rcp_iflag_f32_e32 v4, v4
	v_mul_f32_e32 v4, 0x4f7ffffe, v4
	v_cvt_u32_f32_e32 v4, v4
	v_mul_lo_u32 v7, s1, v4
	v_mul_hi_u32 v7, v4, v7
	v_add_nc_u32_e32 v4, v4, v7
	v_mul_hi_u32 v4, v5, v4
	v_mul_lo_u32 v7, v4, s24
	v_add_nc_u32_e32 v8, 1, v4
	v_sub_nc_u32_e32 v7, v5, v7
	v_subrev_nc_u32_e32 v9, s24, v7
	v_cmp_le_u32_e32 vcc_lo, s24, v7
	v_cndmask_b32_e32 v7, v7, v9, vcc_lo
	v_cndmask_b32_e32 v4, v4, v8, vcc_lo
	v_cmp_le_u32_e32 vcc_lo, s24, v7
	v_add_nc_u32_e32 v8, 1, v4
	v_cndmask_b32_e32 v18, v4, v8, vcc_lo
.LBB0_6:                                ;   in Loop: Header=BB0_2 Depth=1
	s_or_b32 exec_lo, exec_lo, s0
	v_mul_lo_u32 v4, v19, s24
	v_mul_lo_u32 v9, v18, s25
	s_load_dwordx2 s[0:1], s[6:7], 0x0
	v_mad_u64_u32 v[7:8], null, v18, s24, 0
	s_load_dwordx2 s[24:25], s[2:3], 0x0
	s_add_u32 s22, s22, 1
	s_addc_u32 s23, s23, 0
	s_add_u32 s2, s2, 8
	s_addc_u32 s3, s3, 0
	s_add_u32 s6, s6, 8
	v_add3_u32 v4, v8, v9, v4
	v_sub_co_u32 v5, vcc_lo, v5, v7
	s_addc_u32 s7, s7, 0
	s_add_u32 s20, s20, 8
	v_sub_co_ci_u32_e32 v4, vcc_lo, v6, v4, vcc_lo
	s_addc_u32 s21, s21, 0
	s_waitcnt lgkmcnt(0)
	v_mul_lo_u32 v6, s0, v4
	v_mul_lo_u32 v7, s1, v5
	v_mad_u64_u32 v[1:2], null, s0, v5, v[1:2]
	v_mul_lo_u32 v4, s24, v4
	v_mul_lo_u32 v8, s25, v5
	v_mad_u64_u32 v[16:17], null, s24, v5, v[16:17]
	v_cmp_ge_u64_e64 s0, s[22:23], s[14:15]
	v_add3_u32 v2, v7, v2, v6
	v_add3_u32 v17, v8, v17, v4
	s_and_b32 vcc_lo, exec_lo, s0
	s_cbranch_vccnz .LBB0_9
; %bb.7:                                ;   in Loop: Header=BB0_2 Depth=1
	v_mov_b32_e32 v5, v18
	v_mov_b32_e32 v6, v19
	s_branch .LBB0_2
.LBB0_8:
	v_mov_b32_e32 v17, v2
	v_mov_b32_e32 v19, v6
	;; [unrolled: 1-line block ×4, first 2 shown]
.LBB0_9:
	s_load_dwordx2 s[0:1], s[4:5], 0x28
	v_mul_hi_u32 v3, 0x5d1745e, v0
	s_lshl_b64 s[4:5], s[14:15], 3
                                        ; implicit-def: $vgpr20
	s_add_u32 s2, s18, s4
	s_addc_u32 s3, s19, s5
	s_waitcnt lgkmcnt(0)
	v_cmp_gt_u64_e32 vcc_lo, s[0:1], v[18:19]
	v_cmp_le_u64_e64 s0, s[0:1], v[18:19]
	s_and_saveexec_b32 s1, s0
	s_xor_b32 s0, exec_lo, s1
; %bb.10:
	v_mul_u32_u24_e32 v1, 44, v3
                                        ; implicit-def: $vgpr3
	v_sub_nc_u32_e32 v20, v0, v1
                                        ; implicit-def: $vgpr0
                                        ; implicit-def: $vgpr1_vgpr2
; %bb.11:
	s_or_saveexec_b32 s1, s0
	s_load_dwordx2 s[2:3], s[2:3], 0x0
	s_xor_b32 exec_lo, exec_lo, s1
	s_cbranch_execz .LBB0_15
; %bb.12:
	s_add_u32 s4, s16, s4
	s_addc_u32 s5, s17, s5
	v_lshlrev_b64 v[1:2], 3, v[1:2]
	s_load_dwordx2 s[4:5], s[4:5], 0x0
	s_waitcnt lgkmcnt(0)
	v_mul_lo_u32 v6, s5, v18
	v_mul_lo_u32 v7, s4, v19
	v_mad_u64_u32 v[4:5], null, s4, v18, 0
	s_mov_b32 s4, exec_lo
	v_add3_u32 v5, v5, v7, v6
	v_mul_u32_u24_e32 v6, 44, v3
	v_lshlrev_b64 v[3:4], 3, v[4:5]
	v_sub_nc_u32_e32 v20, v0, v6
	v_lshlrev_b32_e32 v29, 3, v20
	v_add_co_u32 v0, s0, s8, v3
	v_add_co_ci_u32_e64 v3, s0, s9, v4, s0
	v_add_co_u32 v0, s0, v0, v1
	v_add_co_ci_u32_e64 v1, s0, v3, v2, s0
	;; [unrolled: 2-line block ×3, first 2 shown]
	v_add_nc_u32_e32 v29, 0, v29
	v_add_co_u32 v4, s0, 0x800, v2
	v_add_co_ci_u32_e64 v5, s0, 0, v3, s0
	s_clause 0xa
	global_load_dwordx2 v[6:7], v[2:3], off
	global_load_dwordx2 v[8:9], v[2:3], off offset:352
	global_load_dwordx2 v[10:11], v[2:3], off offset:704
	;; [unrolled: 1-line block ×10, first 2 shown]
	v_add_nc_u32_e32 v30, 0x800, v29
	s_waitcnt vmcnt(9)
	ds_write2_b64 v29, v[6:7], v[8:9] offset1:44
	s_waitcnt vmcnt(7)
	ds_write2_b64 v29, v[10:11], v[12:13] offset0:88 offset1:132
	s_waitcnt vmcnt(5)
	ds_write2_b64 v29, v[14:15], v[2:3] offset0:176 offset1:220
	;; [unrolled: 2-line block ×4, first 2 shown]
	s_waitcnt vmcnt(0)
	ds_write_b64 v29, v[4:5] offset:3520
	v_cmpx_eq_u32_e32 43, v20
	s_cbranch_execz .LBB0_14
; %bb.13:
	v_add_co_u32 v0, s0, 0x800, v0
	v_add_co_ci_u32_e64 v1, s0, 0, v1, s0
	v_mov_b32_e32 v2, 0
	v_mov_b32_e32 v20, 43
	global_load_dwordx2 v[0:1], v[0:1], off offset:1824
	s_waitcnt vmcnt(0)
	ds_write_b64 v2, v[0:1] offset:3872
.LBB0_14:
	s_or_b32 exec_lo, exec_lo, s4
.LBB0_15:
	s_or_b32 exec_lo, exec_lo, s1
	v_lshlrev_b32_e32 v0, 3, v20
	s_waitcnt lgkmcnt(0)
	s_barrier
	buffer_gl0_inv
	s_add_u32 s1, s12, 0xf00
	v_add_nc_u32_e32 v22, 0, v0
	v_sub_nc_u32_e32 v4, 0, v0
	s_addc_u32 s4, s13, 0
	s_mov_b32 s5, exec_lo
                                        ; implicit-def: $vgpr0_vgpr1
	ds_read_b32 v5, v22
	ds_read_b32 v6, v4 offset:3872
	s_waitcnt lgkmcnt(0)
	v_add_f32_e32 v2, v6, v5
	v_sub_f32_e32 v3, v5, v6
	v_cmpx_ne_u32_e32 0, v20
	s_xor_b32 s5, exec_lo, s5
	s_cbranch_execz .LBB0_17
; %bb.16:
	v_mov_b32_e32 v21, 0
	v_add_f32_e32 v7, v6, v5
	v_sub_f32_e32 v8, v5, v6
	v_lshlrev_b64 v[0:1], 3, v[20:21]
	v_add_co_u32 v0, s0, s1, v0
	v_add_co_ci_u32_e64 v1, s0, s4, v1, s0
	global_load_dwordx2 v[0:1], v[0:1], off
	ds_read_b32 v2, v4 offset:3876
	ds_read_b32 v3, v22 offset:4
	s_waitcnt lgkmcnt(0)
	v_add_f32_e32 v9, v2, v3
	v_sub_f32_e32 v2, v3, v2
	s_waitcnt vmcnt(0)
	v_fma_f32 v5, -v8, v1, v7
	v_fma_f32 v6, v9, v1, -v2
	v_fma_f32 v10, v8, v1, v7
	v_fma_f32 v3, v9, v1, v2
	v_fmac_f32_e32 v5, v0, v9
	v_fmac_f32_e32 v6, v8, v0
	v_fma_f32 v2, -v0, v9, v10
	v_fmac_f32_e32 v3, v8, v0
	v_mov_b32_e32 v0, v20
	v_mov_b32_e32 v1, v21
	ds_write_b64 v4, v[5:6] offset:3872
.LBB0_17:
	s_andn2_saveexec_b32 s0, s5
	s_cbranch_execz .LBB0_19
; %bb.18:
	v_mov_b32_e32 v7, 0
	ds_read_b64 v[0:1], v7 offset:1936
	s_waitcnt lgkmcnt(0)
	v_add_f32_e32 v5, v0, v0
	v_mul_f32_e32 v6, -2.0, v1
	v_mov_b32_e32 v0, 0
	v_mov_b32_e32 v1, 0
	ds_write_b64 v7, v[5:6] offset:1936
.LBB0_19:
	s_or_b32 exec_lo, exec_lo, s0
	v_lshlrev_b64 v[0:1], 3, v[0:1]
	v_add_co_u32 v0, s0, s1, v0
	v_add_co_ci_u32_e64 v1, s0, s4, v1, s0
	s_mov_b32 s1, exec_lo
	s_clause 0x3
	global_load_dwordx2 v[5:6], v[0:1], off offset:352
	global_load_dwordx2 v[7:8], v[0:1], off offset:704
	;; [unrolled: 1-line block ×4, first 2 shown]
	ds_write_b64 v22, v[2:3]
	ds_read_b64 v[2:3], v22 offset:352
	ds_read_b64 v[13:14], v4 offset:3520
	s_waitcnt lgkmcnt(0)
	v_add_f32_e32 v15, v2, v13
	v_add_f32_e32 v21, v14, v3
	v_sub_f32_e32 v23, v2, v13
	v_sub_f32_e32 v2, v3, v14
	s_waitcnt vmcnt(3)
	v_fma_f32 v24, v23, v6, v15
	v_fma_f32 v3, v21, v6, v2
	v_fma_f32 v13, -v23, v6, v15
	v_fma_f32 v14, v21, v6, -v2
	v_fma_f32 v2, -v5, v21, v24
	v_fmac_f32_e32 v3, v23, v5
	v_fmac_f32_e32 v13, v5, v21
	v_fmac_f32_e32 v14, v23, v5
	ds_write_b64 v22, v[2:3] offset:352
	ds_write_b64 v4, v[13:14] offset:3520
	ds_read_b64 v[2:3], v22 offset:704
	ds_read_b64 v[5:6], v4 offset:3168
	s_waitcnt lgkmcnt(0)
	v_add_f32_e32 v13, v2, v5
	v_add_f32_e32 v14, v6, v3
	v_sub_f32_e32 v15, v2, v5
	v_sub_f32_e32 v2, v3, v6
	s_waitcnt vmcnt(2)
	v_fma_f32 v21, v15, v8, v13
	v_fma_f32 v3, v14, v8, v2
	v_fma_f32 v5, -v15, v8, v13
	v_fma_f32 v6, v14, v8, -v2
	v_fma_f32 v2, -v7, v14, v21
	v_fmac_f32_e32 v3, v15, v7
	v_fmac_f32_e32 v5, v7, v14
	v_fmac_f32_e32 v6, v15, v7
	ds_write_b64 v22, v[2:3] offset:704
	ds_write_b64 v4, v[5:6] offset:3168
	;; [unrolled: 18-line block ×4, first 2 shown]
	v_cmpx_gt_u32_e32 22, v20
	s_cbranch_execz .LBB0_21
; %bb.20:
	global_load_dwordx2 v[0:1], v[0:1], off offset:1760
	ds_read_b64 v[2:3], v22 offset:1760
	ds_read_b64 v[5:6], v4 offset:2112
	s_waitcnt lgkmcnt(0)
	v_add_f32_e32 v7, v2, v5
	v_add_f32_e32 v8, v6, v3
	v_sub_f32_e32 v9, v2, v5
	v_sub_f32_e32 v3, v3, v6
	s_waitcnt vmcnt(0)
	v_fma_f32 v10, v9, v1, v7
	v_fma_f32 v2, v8, v1, v3
	v_fma_f32 v5, -v9, v1, v7
	v_fma_f32 v6, v8, v1, -v3
	v_fma_f32 v1, -v0, v8, v10
	v_fmac_f32_e32 v2, v9, v0
	v_fmac_f32_e32 v5, v0, v8
	;; [unrolled: 1-line block ×3, first 2 shown]
	ds_write_b64 v22, v[1:2] offset:1760
	ds_write_b64 v4, v[5:6] offset:2112
.LBB0_21:
	s_or_b32 exec_lo, exec_lo, s1
	v_add_nc_u32_e32 v0, 0x400, v22
	v_add_nc_u32_e32 v21, 0x800, v22
	s_waitcnt lgkmcnt(0)
	s_barrier
	buffer_gl0_inv
	s_barrier
	buffer_gl0_inv
	ds_read2_b64 v[23:26], v22 offset1:44
	ds_read2_b64 v[27:30], v0 offset0:114 offset1:158
	ds_read2_b64 v[0:3], v22 offset0:88 offset1:121
	;; [unrolled: 1-line block ×5, first 2 shown]
	s_mov_b32 s1, exec_lo
	s_waitcnt lgkmcnt(0)
	s_barrier
	buffer_gl0_inv
	v_sub_f32_e32 v27, v23, v27
	v_sub_f32_e32 v31, v24, v28
	;; [unrolled: 1-line block ×8, first 2 shown]
	v_fma_f32 v29, v23, 2.0, -v27
	v_fma_f32 v24, v24, 2.0, -v31
	;; [unrolled: 1-line block ×8, first 2 shown]
	v_sub_f32_e32 v10, v27, v10
	v_add_f32_e32 v11, v31, v28
	v_sub_f32_e32 v3, v32, v13
	v_add_f32_e32 v4, v33, v12
	v_sub_f32_e32 v12, v29, v2
	v_sub_f32_e32 v13, v24, v23
	;; [unrolled: 1-line block ×4, first 2 shown]
	v_fma_f32 v23, v27, 2.0, -v10
	v_fma_f32 v27, v29, 2.0, -v12
	;; [unrolled: 1-line block ×4, first 2 shown]
	v_mad_u32_u24 v5, v20, 24, v22
	v_lshl_add_u32 v2, v20, 5, 0
	v_fma_f32 v29, v30, 2.0, -v25
	v_fma_f32 v30, v34, 2.0, -v26
	;; [unrolled: 1-line block ×4, first 2 shown]
	ds_write2_b64 v5, v[27:28], v[23:24] offset1:1
	ds_write2_b64 v5, v[12:13], v[10:11] offset0:2 offset1:3
	ds_write2_b64 v2, v[29:30], v[31:32] offset0:176 offset1:177
	;; [unrolled: 1-line block ×3, first 2 shown]
	v_cmpx_gt_u32_e32 33, v20
	s_cbranch_execz .LBB0_23
; %bb.22:
	v_sub_f32_e32 v5, v1, v9
	v_sub_f32_e32 v3, v7, v15
	;; [unrolled: 1-line block ×4, first 2 shown]
	v_fma_f32 v9, v1, 2.0, -v5
	v_fma_f32 v7, v7, 2.0, -v3
	;; [unrolled: 1-line block ×4, first 2 shown]
	v_add_f32_e32 v1, v5, v4
	v_sub_f32_e32 v0, v8, v3
	v_sub_f32_e32 v4, v9, v7
	;; [unrolled: 1-line block ×3, first 2 shown]
	v_fma_f32 v6, v5, 2.0, -v1
	v_fma_f32 v5, v8, 2.0, -v0
	;; [unrolled: 1-line block ×3, first 2 shown]
	v_add_nc_u32_e32 v9, 0xb00, v2
	v_fma_f32 v7, v10, 2.0, -v3
	v_add_nc_u32_e32 v2, 0xb10, v2
	ds_write2_b64 v9, v[7:8], v[5:6] offset1:1
	ds_write2_b64 v2, v[3:4], v[0:1] offset1:1
.LBB0_23:
	s_or_b32 exec_lo, exec_lo, s1
	v_and_b32_e32 v4, 3, v20
	s_waitcnt lgkmcnt(0)
	s_barrier
	buffer_gl0_inv
	v_lshrrev_b32_e32 v5, 2, v20
	v_mul_u32_u24_e32 v0, 10, v4
	v_mul_u32_u24_e32 v5, 44, v5
	v_lshlrev_b32_e32 v0, 3, v0
	s_clause 0x4
	global_load_dwordx4 v[8:11], v0, s[12:13]
	global_load_dwordx4 v[23:26], v0, s[12:13] offset:16
	global_load_dwordx4 v[27:30], v0, s[12:13] offset:32
	;; [unrolled: 1-line block ×4, first 2 shown]
	ds_read2_b64 v[0:3], v22 offset1:44
	ds_read2_b64 v[39:42], v22 offset0:88 offset1:132
	ds_read2_b64 v[43:46], v22 offset0:176 offset1:220
	;; [unrolled: 1-line block ×4, first 2 shown]
	ds_read_b64 v[55:56], v22 offset:3520
	v_or_b32_e32 v13, v5, v4
	s_waitcnt vmcnt(0) lgkmcnt(0)
	s_barrier
	buffer_gl0_inv
	v_lshl_add_u32 v127, v13, 3, 0
	v_mul_f32_e32 v12, v9, v3
	v_mul_f32_e32 v57, v9, v2
	;; [unrolled: 1-line block ×20, first 2 shown]
	v_fma_f32 v38, v8, v2, -v12
	v_fmac_f32_e32 v57, v8, v3
	v_fma_f32 v39, v10, v39, -v14
	v_fmac_f32_e32 v58, v10, v40
	;; [unrolled: 2-line block ×4, first 2 shown]
	v_fma_f32 v14, v27, v45, -v26
	v_fma_f32 v2, v55, v37, -v36
	v_fmac_f32_e32 v4, v56, v37
	v_add_f32_e32 v25, v38, v0
	v_add_f32_e32 v26, v57, v1
	v_fmac_f32_e32 v11, v27, v46
	v_fma_f32 v12, v47, v29, -v28
	v_fmac_f32_e32 v9, v48, v29
	v_fma_f32 v10, v49, v31, -v30
	;; [unrolled: 2-line block ×4, first 2 shown]
	v_fmac_f32_e32 v5, v54, v35
	v_sub_f32_e32 v29, v38, v2
	v_sub_f32_e32 v30, v57, v4
	v_add_f32_e32 v25, v25, v39
	v_add_f32_e32 v26, v26, v58
	;; [unrolled: 1-line block ×5, first 2 shown]
	v_sub_f32_e32 v33, v39, v3
	v_sub_f32_e32 v34, v58, v5
	v_sub_f32_e32 v35, v24, v6
	v_sub_f32_e32 v37, v40, v8
	v_add_f32_e32 v38, v24, v6
	v_sub_f32_e32 v41, v15, v7
	v_sub_f32_e32 v43, v23, v10
	;; [unrolled: 1-line block ×4, first 2 shown]
	v_mul_f32_e32 v39, 0xbf0a6770, v30
	v_mul_f32_e32 v49, 0xbf0a6770, v29
	;; [unrolled: 1-line block ×9, first 2 shown]
	v_add_f32_e32 v25, v25, v40
	v_add_f32_e32 v24, v26, v24
	v_mul_f32_e32 v29, 0xbe903f40, v29
	v_add_f32_e32 v32, v58, v5
	v_add_f32_e32 v36, v40, v8
	;; [unrolled: 1-line block ×6, first 2 shown]
	v_mul_f32_e32 v56, 0xbf68dda4, v34
	v_mul_f32_e32 v57, 0xbf68dda4, v33
	;; [unrolled: 1-line block ×40, first 2 shown]
	v_fma_f32 v88, 0x3f575c64, v27, -v39
	v_fmamk_f32 v89, v28, 0x3f575c64, v49
	v_fmac_f32_e32 v39, 0x3f575c64, v27
	v_fma_f32 v49, 0x3f575c64, v28, -v49
	v_fma_f32 v90, 0x3ed4b147, v27, -v50
	v_fmamk_f32 v91, v28, 0x3ed4b147, v51
	v_fmac_f32_e32 v50, 0x3ed4b147, v27
	v_fma_f32 v51, 0x3ed4b147, v28, -v51
	;; [unrolled: 4-line block ×4, first 2 shown]
	v_fma_f32 v96, 0xbf75a155, v27, -v30
	v_add_f32_e32 v23, v25, v23
	v_add_f32_e32 v15, v24, v15
	v_mul_u32_u24_e32 v24, 10, v20
	v_fmac_f32_e32 v30, 0xbf75a155, v27
	v_fmamk_f32 v27, v28, 0xbf75a155, v29
	v_fma_f32 v28, 0xbf75a155, v28, -v29
	v_fma_f32 v29, 0x3ed4b147, v31, -v56
	v_fmac_f32_e32 v56, 0x3ed4b147, v31
	v_fma_f32 v97, 0xbf27a4f4, v31, -v58
	v_fmac_f32_e32 v58, 0xbf27a4f4, v31
	v_fma_f32 v98, 0xbf75a155, v31, -v60
	v_fmac_f32_e32 v60, 0xbf75a155, v31
	v_fma_f32 v99, 0xbe11bafb, v31, -v62
	v_fmac_f32_e32 v62, 0xbe11bafb, v31
	v_fma_f32 v100, 0x3f575c64, v31, -v34
	v_fmac_f32_e32 v34, 0x3f575c64, v31
	v_fmamk_f32 v31, v32, 0x3ed4b147, v57
	v_fma_f32 v57, 0x3ed4b147, v32, -v57
	v_fmamk_f32 v101, v32, 0xbf27a4f4, v59
	v_fma_f32 v59, 0xbf27a4f4, v32, -v59
	v_fmamk_f32 v102, v32, 0xbf75a155, v61
	v_fma_f32 v61, 0xbf75a155, v32, -v61
	v_fmamk_f32 v103, v32, 0xbe11bafb, v63
	v_fma_f32 v63, 0xbe11bafb, v32, -v63
	v_fmamk_f32 v104, v32, 0x3f575c64, v33
	v_fma_f32 v32, 0x3f575c64, v32, -v33
	v_fma_f32 v33, 0xbe11bafb, v36, -v64
	v_fmac_f32_e32 v64, 0xbe11bafb, v36
	v_fma_f32 v105, 0xbf75a155, v36, -v65
	v_fmac_f32_e32 v65, 0xbf75a155, v36
	v_fma_f32 v106, 0x3ed4b147, v36, -v66
	v_fmac_f32_e32 v66, 0x3ed4b147, v36
	v_fma_f32 v107, 0x3f575c64, v36, -v67
	v_fmac_f32_e32 v67, 0x3f575c64, v36
	v_fma_f32 v108, 0xbf27a4f4, v36, -v35
	v_fmac_f32_e32 v35, 0xbf27a4f4, v36
	v_fmamk_f32 v26, v38, 0xbe11bafb, v68
	v_fma_f32 v36, 0xbe11bafb, v38, -v68
	v_fmamk_f32 v40, v38, 0xbf75a155, v69
	v_fma_f32 v68, 0xbf75a155, v38, -v69
	v_fmamk_f32 v69, v38, 0x3ed4b147, v70
	v_fma_f32 v70, 0x3ed4b147, v38, -v70
	v_fmamk_f32 v109, v38, 0x3f575c64, v71
	v_fma_f32 v71, 0x3f575c64, v38, -v71
	;; [unrolled: 20-line block ×4, first 2 shown]
	v_fmamk_f32 v126, v48, 0xbe11bafb, v47
	v_fma_f32 v47, 0xbe11bafb, v48, -v47
	v_lshlrev_b32_e32 v48, 3, v24
	v_add_f32_e32 v13, v88, v0
	v_add_f32_e32 v24, v89, v1
	;; [unrolled: 1-line block ×112, first 2 shown]
	ds_write2_b64 v127, v[8:9], v[12:13] offset0:8 offset1:12
	ds_write2_b64 v127, v[23:24], v[27:28] offset0:16 offset1:20
	ds_write2_b64 v127, v[29:30], v[25:26] offset0:24 offset1:28
	ds_write2_b64 v127, v[14:15], v[10:11] offset0:32 offset1:36
	ds_write_b64 v127, v[6:7] offset:320
	ds_write2_b64 v127, v[2:3], v[0:1] offset1:4
	s_waitcnt lgkmcnt(0)
	s_barrier
	buffer_gl0_inv
	s_clause 0x4
	global_load_dwordx4 v[8:11], v48, s[12:13] offset:320
	global_load_dwordx4 v[29:32], v48, s[12:13] offset:336
	;; [unrolled: 1-line block ×5, first 2 shown]
	ds_read2_b64 v[0:3], v22 offset1:44
	ds_read2_b64 v[45:48], v22 offset0:88 offset1:132
	ds_read2_b64 v[49:52], v22 offset0:176 offset1:220
	;; [unrolled: 1-line block ×4, first 2 shown]
	ds_read_b64 v[25:26], v22 offset:3520
	s_waitcnt vmcnt(0) lgkmcnt(0)
	s_barrier
	buffer_gl0_inv
	v_mul_f32_e32 v13, v9, v3
	v_mul_f32_e32 v61, v9, v2
	;; [unrolled: 1-line block ×20, first 2 shown]
	v_fma_f32 v44, v8, v2, -v13
	v_fmac_f32_e32 v61, v8, v3
	v_fma_f32 v28, v10, v45, -v14
	v_fmac_f32_e32 v27, v10, v46
	v_fma_f32 v24, v29, v47, -v15
	v_fma_f32 v15, v31, v49, -v30
	v_fmac_f32_e32 v12, v31, v50
	v_fma_f32 v14, v33, v51, -v32
	v_fma_f32 v3, v59, v41, -v40
	v_fmac_f32_e32 v5, v60, v41
	v_add_f32_e32 v31, v44, v0
	v_add_f32_e32 v32, v61, v1
	v_fma_f32 v2, v25, v43, -v42
	v_fmac_f32_e32 v4, v26, v43
	v_fmac_f32_e32 v23, v29, v48
	v_fma_f32 v13, v53, v35, -v34
	v_fmac_f32_e32 v9, v54, v35
	v_fma_f32 v10, v55, v37, -v36
	v_fma_f32 v8, v57, v39, -v38
	v_fmac_f32_e32 v6, v58, v39
	v_add_f32_e32 v30, v28, v3
	v_add_f32_e32 v29, v27, v5
	v_sub_f32_e32 v35, v28, v3
	v_sub_f32_e32 v36, v27, v5
	v_add_f32_e32 v28, v31, v28
	v_add_f32_e32 v27, v32, v27
	v_fmac_f32_e32 v11, v33, v52
	v_fmac_f32_e32 v7, v56, v37
	v_sub_f32_e32 v33, v44, v2
	v_sub_f32_e32 v34, v61, v4
	;; [unrolled: 1-line block ×3, first 2 shown]
	v_add_f32_e32 v38, v24, v8
	v_sub_f32_e32 v39, v24, v8
	v_add_f32_e32 v40, v23, v6
	v_add_f32_e32 v24, v28, v24
	;; [unrolled: 1-line block ×5, first 2 shown]
	v_sub_f32_e32 v41, v12, v7
	v_sub_f32_e32 v43, v15, v10
	v_sub_f32_e32 v45, v11, v9
	v_sub_f32_e32 v47, v14, v13
	v_mul_f32_e32 v31, 0xbf0a6770, v34
	v_mul_f32_e32 v32, 0xbf0a6770, v33
	;; [unrolled: 1-line block ×10, first 2 shown]
	v_add_f32_e32 v42, v15, v10
	v_add_f32_e32 v44, v12, v7
	;; [unrolled: 1-line block ×6, first 2 shown]
	v_mul_f32_e32 v55, 0xbf68dda4, v36
	v_mul_f32_e32 v56, 0xbf68dda4, v35
	;; [unrolled: 1-line block ×40, first 2 shown]
	v_fma_f32 v87, 0x3f575c64, v25, -v31
	v_fmamk_f32 v88, v26, 0x3f575c64, v32
	v_fmac_f32_e32 v31, 0x3f575c64, v25
	v_fma_f32 v32, 0x3f575c64, v26, -v32
	v_fma_f32 v89, 0x3ed4b147, v25, -v49
	v_fmamk_f32 v90, v26, 0x3ed4b147, v50
	v_fmac_f32_e32 v49, 0x3ed4b147, v25
	v_fma_f32 v50, 0x3ed4b147, v26, -v50
	;; [unrolled: 4-line block ×5, first 2 shown]
	v_add_f32_e32 v14, v15, v14
	v_add_f32_e32 v11, v12, v11
	v_fma_f32 v26, 0x3ed4b147, v30, -v55
	v_fmamk_f32 v33, v29, 0x3ed4b147, v56
	v_fmac_f32_e32 v55, 0x3ed4b147, v30
	v_fma_f32 v56, 0x3ed4b147, v29, -v56
	v_fma_f32 v97, 0xbf27a4f4, v30, -v57
	v_fmac_f32_e32 v57, 0xbf27a4f4, v30
	v_fma_f32 v98, 0xbf75a155, v30, -v59
	v_fmac_f32_e32 v59, 0xbf75a155, v30
	;; [unrolled: 2-line block ×4, first 2 shown]
	v_fmamk_f32 v30, v29, 0xbf27a4f4, v58
	v_fma_f32 v58, 0xbf27a4f4, v29, -v58
	v_fmamk_f32 v101, v29, 0xbf75a155, v60
	v_fma_f32 v60, 0xbf75a155, v29, -v60
	v_fmamk_f32 v102, v29, 0xbe11bafb, v62
	v_fma_f32 v62, 0xbe11bafb, v29, -v62
	v_fmamk_f32 v103, v29, 0x3f575c64, v35
	v_fma_f32 v29, 0x3f575c64, v29, -v35
	v_fma_f32 v35, 0xbe11bafb, v38, -v63
	v_fmac_f32_e32 v63, 0xbe11bafb, v38
	v_fma_f32 v104, 0xbf75a155, v38, -v64
	v_fmac_f32_e32 v64, 0xbf75a155, v38
	v_fma_f32 v105, 0x3ed4b147, v38, -v65
	v_fmac_f32_e32 v65, 0x3ed4b147, v38
	v_fma_f32 v106, 0x3f575c64, v38, -v66
	v_fmac_f32_e32 v66, 0x3f575c64, v38
	v_fma_f32 v107, 0xbf27a4f4, v38, -v37
	v_fmac_f32_e32 v37, 0xbf27a4f4, v38
	v_fmamk_f32 v27, v40, 0xbe11bafb, v67
	v_fma_f32 v28, 0xbe11bafb, v40, -v67
	v_fmamk_f32 v38, v40, 0xbf75a155, v68
	v_fma_f32 v67, 0xbf75a155, v40, -v68
	v_fmamk_f32 v68, v40, 0x3ed4b147, v69
	v_fma_f32 v69, 0x3ed4b147, v40, -v69
	v_fmamk_f32 v108, v40, 0x3f575c64, v70
	v_fma_f32 v70, 0x3f575c64, v40, -v70
	v_fmamk_f32 v109, v40, 0xbf27a4f4, v39
	v_fma_f32 v39, 0xbf27a4f4, v40, -v39
	v_fma_f32 v40, 0xbf27a4f4, v42, -v71
	v_fmac_f32_e32 v71, 0xbf27a4f4, v42
	v_fma_f32 v110, 0xbe11bafb, v42, -v72
	v_fmac_f32_e32 v72, 0xbe11bafb, v42
	v_fma_f32 v111, 0x3f575c64, v42, -v73
	v_fmac_f32_e32 v73, 0x3f575c64, v42
	v_fma_f32 v112, 0xbf75a155, v42, -v74
	v_fmac_f32_e32 v74, 0xbf75a155, v42
	v_fma_f32 v113, 0x3ed4b147, v42, -v41
	v_fmac_f32_e32 v41, 0x3ed4b147, v42
	v_fmamk_f32 v42, v44, 0xbf27a4f4, v75
	v_fma_f32 v75, 0xbf27a4f4, v44, -v75
	;; [unrolled: 20-line block ×3, first 2 shown]
	v_fmamk_f32 v122, v48, 0x3f575c64, v84
	v_fma_f32 v84, 0x3f575c64, v48, -v84
	v_fmamk_f32 v123, v48, 0xbf27a4f4, v85
	v_fma_f32 v85, 0xbf27a4f4, v48, -v85
	;; [unrolled: 2-line block ×4, first 2 shown]
	v_add_f32_e32 v48, v87, v0
	v_add_f32_e32 v87, v88, v1
	;; [unrolled: 1-line block ×110, first 2 shown]
	ds_write2_b64 v22, v[8:9], v[12:13] offset0:88 offset1:132
	ds_write2_b64 v22, v[23:24], v[27:28] offset0:176 offset1:220
	;; [unrolled: 1-line block ×4, first 2 shown]
	ds_write_b64 v22, v[6:7] offset:3520
	ds_write2_b64 v22, v[2:3], v[0:1] offset1:44
	s_waitcnt lgkmcnt(0)
	s_barrier
	buffer_gl0_inv
	s_and_saveexec_b32 s0, vcc_lo
	s_cbranch_execz .LBB0_25
; %bb.24:
	v_mul_lo_u32 v0, s3, v18
	v_mul_lo_u32 v1, s2, v19
	v_mad_u64_u32 v[4:5], null, s2, v18, 0
	v_lshl_add_u32 v18, v20, 3, 0
	v_mov_b32_e32 v21, 0
	v_lshlrev_b64 v[8:9], 3, v[16:17]
	v_add_nc_u32_e32 v10, 44, v20
	v_add_nc_u32_e32 v12, 0x58, v20
	v_add3_u32 v5, v5, v1, v0
	ds_read2_b64 v[0:3], v18 offset1:44
	v_mov_b32_e32 v11, v21
	v_lshlrev_b64 v[16:17], 3, v[20:21]
	v_mov_b32_e32 v13, v21
	v_lshlrev_b64 v[14:15], 3, v[4:5]
	ds_read2_b64 v[4:7], v18 offset0:88 offset1:132
	v_lshlrev_b64 v[10:11], 3, v[10:11]
	v_add_co_u32 v14, vcc_lo, s10, v14
	v_add_co_ci_u32_e32 v15, vcc_lo, s11, v15, vcc_lo
	v_add_co_u32 v22, vcc_lo, v14, v8
	v_add_co_ci_u32_e32 v23, vcc_lo, v15, v9, vcc_lo
	v_lshlrev_b64 v[8:9], 3, v[12:13]
	v_add_co_u32 v12, vcc_lo, v22, v16
	v_add_co_ci_u32_e32 v13, vcc_lo, v23, v17, vcc_lo
	v_add_co_u32 v10, vcc_lo, v22, v10
	v_add_co_ci_u32_e32 v11, vcc_lo, v23, v11, vcc_lo
	s_waitcnt lgkmcnt(1)
	global_store_dwordx2 v[12:13], v[0:1], off
	v_add_co_u32 v0, vcc_lo, v22, v8
	v_add_co_ci_u32_e32 v1, vcc_lo, v23, v9, vcc_lo
	v_add_nc_u32_e32 v8, 0x84, v20
	v_mov_b32_e32 v9, v21
	global_store_dwordx2 v[10:11], v[2:3], off
	s_waitcnt lgkmcnt(0)
	global_store_dwordx2 v[0:1], v[4:5], off
	v_add_nc_u32_e32 v12, 0xb0, v20
	v_mov_b32_e32 v13, v21
	ds_read2_b64 v[0:3], v18 offset0:176 offset1:220
	v_lshlrev_b64 v[4:5], 3, v[8:9]
	v_add_nc_u32_e32 v10, 0xdc, v20
	v_mov_b32_e32 v11, v21
	v_lshlrev_b64 v[8:9], 3, v[12:13]
	v_add_nc_u32_e32 v12, 0x108, v20
	v_add_nc_u32_e32 v14, 0x800, v18
	v_add_co_u32 v4, vcc_lo, v22, v4
	v_lshlrev_b64 v[10:11], 3, v[10:11]
	v_add_co_ci_u32_e32 v5, vcc_lo, v23, v5, vcc_lo
	v_add_co_u32 v8, vcc_lo, v22, v8
	v_add_co_ci_u32_e32 v9, vcc_lo, v23, v9, vcc_lo
	v_add_co_u32 v10, vcc_lo, v22, v10
	v_add_co_ci_u32_e32 v11, vcc_lo, v23, v11, vcc_lo
	global_store_dwordx2 v[4:5], v[6:7], off
	s_waitcnt lgkmcnt(0)
	global_store_dwordx2 v[8:9], v[0:1], off
	global_store_dwordx2 v[10:11], v[2:3], off
	v_lshlrev_b64 v[4:5], 3, v[12:13]
	v_add_nc_u32_e32 v6, 0x134, v20
	v_mov_b32_e32 v7, v21
	ds_read2_b64 v[0:3], v14 offset0:8 offset1:52
	v_add_nc_u32_e32 v8, 0x160, v20
	v_mov_b32_e32 v9, v21
	v_add_co_u32 v10, vcc_lo, v22, v4
	v_add_co_ci_u32_e32 v11, vcc_lo, v23, v5, vcc_lo
	v_lshlrev_b64 v[12:13], 3, v[6:7]
	ds_read2_b64 v[4:7], v14 offset0:96 offset1:140
	v_add_nc_u32_e32 v14, 0x18c, v20
	v_mov_b32_e32 v15, v21
	ds_read_b64 v[16:17], v18 offset:3520
	v_lshlrev_b64 v[8:9], 3, v[8:9]
	v_add_nc_u32_e32 v20, 0x1b8, v20
	v_add_co_u32 v12, vcc_lo, v22, v12
	v_lshlrev_b64 v[14:15], 3, v[14:15]
	v_add_co_ci_u32_e32 v13, vcc_lo, v23, v13, vcc_lo
	v_add_co_u32 v8, vcc_lo, v22, v8
	v_lshlrev_b64 v[18:19], 3, v[20:21]
	v_add_co_ci_u32_e32 v9, vcc_lo, v23, v9, vcc_lo
	v_add_co_u32 v14, vcc_lo, v22, v14
	v_add_co_ci_u32_e32 v15, vcc_lo, v23, v15, vcc_lo
	v_add_co_u32 v18, vcc_lo, v22, v18
	v_add_co_ci_u32_e32 v19, vcc_lo, v23, v19, vcc_lo
	s_waitcnt lgkmcnt(2)
	global_store_dwordx2 v[10:11], v[0:1], off
	global_store_dwordx2 v[12:13], v[2:3], off
	s_waitcnt lgkmcnt(1)
	global_store_dwordx2 v[8:9], v[4:5], off
	global_store_dwordx2 v[14:15], v[6:7], off
	s_waitcnt lgkmcnt(0)
	global_store_dwordx2 v[18:19], v[16:17], off
.LBB0_25:
	s_endpgm
	.section	.rodata,"a",@progbits
	.p2align	6, 0x0
	.amdhsa_kernel fft_rtc_fwd_len484_factors_4_11_11_wgs_44_tpt_44_sp_op_CI_CI_unitstride_sbrr_C2R_dirReg
		.amdhsa_group_segment_fixed_size 0
		.amdhsa_private_segment_fixed_size 0
		.amdhsa_kernarg_size 104
		.amdhsa_user_sgpr_count 6
		.amdhsa_user_sgpr_private_segment_buffer 1
		.amdhsa_user_sgpr_dispatch_ptr 0
		.amdhsa_user_sgpr_queue_ptr 0
		.amdhsa_user_sgpr_kernarg_segment_ptr 1
		.amdhsa_user_sgpr_dispatch_id 0
		.amdhsa_user_sgpr_flat_scratch_init 0
		.amdhsa_user_sgpr_private_segment_size 0
		.amdhsa_wavefront_size32 1
		.amdhsa_uses_dynamic_stack 0
		.amdhsa_system_sgpr_private_segment_wavefront_offset 0
		.amdhsa_system_sgpr_workgroup_id_x 1
		.amdhsa_system_sgpr_workgroup_id_y 0
		.amdhsa_system_sgpr_workgroup_id_z 0
		.amdhsa_system_sgpr_workgroup_info 0
		.amdhsa_system_vgpr_workitem_id 0
		.amdhsa_next_free_vgpr 128
		.amdhsa_next_free_sgpr 27
		.amdhsa_reserve_vcc 1
		.amdhsa_reserve_flat_scratch 0
		.amdhsa_float_round_mode_32 0
		.amdhsa_float_round_mode_16_64 0
		.amdhsa_float_denorm_mode_32 3
		.amdhsa_float_denorm_mode_16_64 3
		.amdhsa_dx10_clamp 1
		.amdhsa_ieee_mode 1
		.amdhsa_fp16_overflow 0
		.amdhsa_workgroup_processor_mode 1
		.amdhsa_memory_ordered 1
		.amdhsa_forward_progress 0
		.amdhsa_shared_vgpr_count 0
		.amdhsa_exception_fp_ieee_invalid_op 0
		.amdhsa_exception_fp_denorm_src 0
		.amdhsa_exception_fp_ieee_div_zero 0
		.amdhsa_exception_fp_ieee_overflow 0
		.amdhsa_exception_fp_ieee_underflow 0
		.amdhsa_exception_fp_ieee_inexact 0
		.amdhsa_exception_int_div_zero 0
	.end_amdhsa_kernel
	.text
.Lfunc_end0:
	.size	fft_rtc_fwd_len484_factors_4_11_11_wgs_44_tpt_44_sp_op_CI_CI_unitstride_sbrr_C2R_dirReg, .Lfunc_end0-fft_rtc_fwd_len484_factors_4_11_11_wgs_44_tpt_44_sp_op_CI_CI_unitstride_sbrr_C2R_dirReg
                                        ; -- End function
	.section	.AMDGPU.csdata,"",@progbits
; Kernel info:
; codeLenInByte = 8304
; NumSgprs: 29
; NumVgprs: 128
; ScratchSize: 0
; MemoryBound: 0
; FloatMode: 240
; IeeeMode: 1
; LDSByteSize: 0 bytes/workgroup (compile time only)
; SGPRBlocks: 3
; VGPRBlocks: 15
; NumSGPRsForWavesPerEU: 29
; NumVGPRsForWavesPerEU: 128
; Occupancy: 8
; WaveLimiterHint : 1
; COMPUTE_PGM_RSRC2:SCRATCH_EN: 0
; COMPUTE_PGM_RSRC2:USER_SGPR: 6
; COMPUTE_PGM_RSRC2:TRAP_HANDLER: 0
; COMPUTE_PGM_RSRC2:TGID_X_EN: 1
; COMPUTE_PGM_RSRC2:TGID_Y_EN: 0
; COMPUTE_PGM_RSRC2:TGID_Z_EN: 0
; COMPUTE_PGM_RSRC2:TIDIG_COMP_CNT: 0
	.text
	.p2alignl 6, 3214868480
	.fill 48, 4, 3214868480
	.type	__hip_cuid_18f60a73a6436bc6,@object ; @__hip_cuid_18f60a73a6436bc6
	.section	.bss,"aw",@nobits
	.globl	__hip_cuid_18f60a73a6436bc6
__hip_cuid_18f60a73a6436bc6:
	.byte	0                               ; 0x0
	.size	__hip_cuid_18f60a73a6436bc6, 1

	.ident	"AMD clang version 19.0.0git (https://github.com/RadeonOpenCompute/llvm-project roc-6.4.0 25133 c7fe45cf4b819c5991fe208aaa96edf142730f1d)"
	.section	".note.GNU-stack","",@progbits
	.addrsig
	.addrsig_sym __hip_cuid_18f60a73a6436bc6
	.amdgpu_metadata
---
amdhsa.kernels:
  - .args:
      - .actual_access:  read_only
        .address_space:  global
        .offset:         0
        .size:           8
        .value_kind:     global_buffer
      - .offset:         8
        .size:           8
        .value_kind:     by_value
      - .actual_access:  read_only
        .address_space:  global
        .offset:         16
        .size:           8
        .value_kind:     global_buffer
      - .actual_access:  read_only
        .address_space:  global
        .offset:         24
        .size:           8
        .value_kind:     global_buffer
      - .actual_access:  read_only
        .address_space:  global
        .offset:         32
        .size:           8
        .value_kind:     global_buffer
      - .offset:         40
        .size:           8
        .value_kind:     by_value
      - .actual_access:  read_only
        .address_space:  global
        .offset:         48
        .size:           8
        .value_kind:     global_buffer
      - .actual_access:  read_only
        .address_space:  global
        .offset:         56
        .size:           8
        .value_kind:     global_buffer
      - .offset:         64
        .size:           4
        .value_kind:     by_value
      - .actual_access:  read_only
        .address_space:  global
        .offset:         72
        .size:           8
        .value_kind:     global_buffer
      - .actual_access:  read_only
        .address_space:  global
        .offset:         80
        .size:           8
        .value_kind:     global_buffer
      - .actual_access:  read_only
        .address_space:  global
        .offset:         88
        .size:           8
        .value_kind:     global_buffer
      - .actual_access:  write_only
        .address_space:  global
        .offset:         96
        .size:           8
        .value_kind:     global_buffer
    .group_segment_fixed_size: 0
    .kernarg_segment_align: 8
    .kernarg_segment_size: 104
    .language:       OpenCL C
    .language_version:
      - 2
      - 0
    .max_flat_workgroup_size: 44
    .name:           fft_rtc_fwd_len484_factors_4_11_11_wgs_44_tpt_44_sp_op_CI_CI_unitstride_sbrr_C2R_dirReg
    .private_segment_fixed_size: 0
    .sgpr_count:     29
    .sgpr_spill_count: 0
    .symbol:         fft_rtc_fwd_len484_factors_4_11_11_wgs_44_tpt_44_sp_op_CI_CI_unitstride_sbrr_C2R_dirReg.kd
    .uniform_work_group_size: 1
    .uses_dynamic_stack: false
    .vgpr_count:     128
    .vgpr_spill_count: 0
    .wavefront_size: 32
    .workgroup_processor_mode: 1
amdhsa.target:   amdgcn-amd-amdhsa--gfx1030
amdhsa.version:
  - 1
  - 2
...

	.end_amdgpu_metadata
